;; amdgpu-corpus repo=ROCm/rocFFT kind=compiled arch=gfx1201 opt=O3
	.text
	.amdgcn_target "amdgcn-amd-amdhsa--gfx1201"
	.amdhsa_code_object_version 6
	.protected	fft_rtc_fwd_len108_factors_9_2_6_wgs_252_tpt_12_dim3_sp_ip_CI_sbcc_twdbase8_3step_dirReg_intrinsicReadWrite ; -- Begin function fft_rtc_fwd_len108_factors_9_2_6_wgs_252_tpt_12_dim3_sp_ip_CI_sbcc_twdbase8_3step_dirReg_intrinsicReadWrite
	.globl	fft_rtc_fwd_len108_factors_9_2_6_wgs_252_tpt_12_dim3_sp_ip_CI_sbcc_twdbase8_3step_dirReg_intrinsicReadWrite
	.p2align	8
	.type	fft_rtc_fwd_len108_factors_9_2_6_wgs_252_tpt_12_dim3_sp_ip_CI_sbcc_twdbase8_3step_dirReg_intrinsicReadWrite,@function
fft_rtc_fwd_len108_factors_9_2_6_wgs_252_tpt_12_dim3_sp_ip_CI_sbcc_twdbase8_3step_dirReg_intrinsicReadWrite: ; @fft_rtc_fwd_len108_factors_9_2_6_wgs_252_tpt_12_dim3_sp_ip_CI_sbcc_twdbase8_3step_dirReg_intrinsicReadWrite
; %bb.0:
	s_load_b128 s[4:7], s[0:1], 0x10
	s_mov_b32 s11, 0
	s_mov_b32 s2, 0x30c26c00
	;; [unrolled: 1-line block ×4, first 2 shown]
	s_delay_alu instid0(SALU_CYCLE_1) | instskip(SKIP_3) | instid1(SALU_CYCLE_1)
	s_add_nc_u64 s[8:9], s[10:11], s[2:3]
	s_movk_i32 s2, 0xffeb
	s_mov_b32 s3, -1
	s_add_co_i32 s9, s9, 0xc30c2e0
	s_mul_u64 s[12:13], s[8:9], s[2:3]
	s_delay_alu instid0(SALU_CYCLE_1)
	s_mul_hi_u32 s15, s8, s13
	s_mul_i32 s14, s8, s13
	s_mul_hi_u32 s10, s8, s12
	s_mul_i32 s17, s9, s12
	s_add_nc_u64 s[14:15], s[10:11], s[14:15]
	s_mul_hi_u32 s16, s9, s12
	s_mul_hi_u32 s18, s9, s13
	s_wait_kmcnt 0x0
	s_load_b64 s[2:3], s[4:5], 0x8
	s_add_co_u32 s10, s14, s17
	s_add_co_ci_u32 s10, s15, s16
	s_mul_i32 s12, s9, s13
	s_add_co_ci_u32 s13, s18, 0
	s_delay_alu instid0(SALU_CYCLE_1) | instskip(NEXT) | instid1(SALU_CYCLE_1)
	s_add_nc_u64 s[12:13], s[10:11], s[12:13]
	v_add_co_u32 v1, s8, s8, s12
	s_delay_alu instid0(VALU_DEP_1) | instskip(SKIP_1) | instid1(VALU_DEP_1)
	s_cmp_lg_u32 s8, 0
	s_add_co_ci_u32 s14, s9, s13
	v_readfirstlane_b32 s15, v1
	s_wait_kmcnt 0x0
	s_add_nc_u64 s[8:9], s[2:3], -1
	s_wait_alu 0xfffe
	s_mul_hi_u32 s13, s8, s14
	s_mul_i32 s12, s8, s14
	s_mul_hi_u32 s10, s8, s15
	s_mul_hi_u32 s17, s9, s15
	s_mul_i32 s15, s9, s15
	s_wait_alu 0xfffe
	s_add_nc_u64 s[12:13], s[10:11], s[12:13]
	s_mul_hi_u32 s16, s9, s14
	s_wait_alu 0xfffe
	s_add_co_u32 s10, s12, s15
	s_add_co_ci_u32 s10, s13, s17
	s_mul_i32 s14, s9, s14
	s_add_co_ci_u32 s15, s16, 0
	s_delay_alu instid0(SALU_CYCLE_1) | instskip(SKIP_2) | instid1(SALU_CYCLE_1)
	s_add_nc_u64 s[12:13], s[10:11], s[14:15]
	s_wait_alu 0xfffe
	s_mul_u64 s[14:15], s[12:13], 21
	v_sub_co_u32 v1, s8, s8, s14
	s_delay_alu instid0(VALU_DEP_1) | instskip(SKIP_1) | instid1(VALU_DEP_1)
	s_cmp_lg_u32 s8, 0
	s_sub_co_ci_u32 s16, s9, s15
	v_sub_co_u32 v2, s10, v1, 21
	s_delay_alu instid0(VALU_DEP_1) | instskip(SKIP_2) | instid1(VALU_DEP_1)
	s_cmp_lg_u32 s10, 0
	s_add_nc_u64 s[14:15], s[12:13], 2
	s_sub_co_ci_u32 s10, s16, 0
	v_readfirstlane_b32 s8, v2
	s_delay_alu instid0(VALU_DEP_1)
	s_cmp_gt_u32 s8, 20
	s_add_nc_u64 s[8:9], s[12:13], 1
	s_cselect_b32 s17, -1, 0
	s_cmp_eq_u32 s10, 0
	s_cselect_b32 s10, s17, -1
	v_readfirstlane_b32 s17, v1
	s_cmp_lg_u32 s10, 0
	s_wait_alu 0xfffe
	s_cselect_b32 s8, s14, s8
	s_cselect_b32 s9, s15, s9
	s_cmp_gt_u32 s17, 20
	s_cselect_b32 s10, -1, 0
	s_cmp_eq_u32 s16, 0
	s_mov_b64 s[16:17], 0
	s_cselect_b32 s10, s10, -1
	s_delay_alu instid0(SALU_CYCLE_1)
	s_cmp_lg_u32 s10, 0
	s_mov_b32 s10, ttmp9
	s_wait_alu 0xfffe
	s_cselect_b32 s9, s9, s13
	s_cselect_b32 s8, s8, s12
	s_wait_alu 0xfffe
	s_add_nc_u64 s[12:13], s[8:9], 1
	s_wait_alu 0xfffe
	v_cmp_lt_u64_e64 s8, s[10:11], s[12:13]
	s_delay_alu instid0(VALU_DEP_1)
	s_and_b32 vcc_lo, exec_lo, s8
	s_cbranch_vccnz .LBB0_2
; %bb.1:
	v_cvt_f32_u32_e32 v1, s12
	s_sub_co_i32 s9, 0, s12
	s_mov_b32 s17, s11
	s_delay_alu instid0(VALU_DEP_1) | instskip(NEXT) | instid1(TRANS32_DEP_1)
	v_rcp_iflag_f32_e32 v1, v1
	v_mul_f32_e32 v1, 0x4f7ffffe, v1
	s_delay_alu instid0(VALU_DEP_1) | instskip(NEXT) | instid1(VALU_DEP_1)
	v_cvt_u32_f32_e32 v1, v1
	v_readfirstlane_b32 s8, v1
	s_wait_alu 0xfffe
	s_delay_alu instid0(VALU_DEP_1)
	s_mul_i32 s9, s9, s8
	s_wait_alu 0xfffe
	s_mul_hi_u32 s9, s8, s9
	s_wait_alu 0xfffe
	s_add_co_i32 s8, s8, s9
	s_wait_alu 0xfffe
	s_mul_hi_u32 s8, s10, s8
	s_wait_alu 0xfffe
	s_mul_i32 s9, s8, s12
	s_add_co_i32 s14, s8, 1
	s_wait_alu 0xfffe
	s_sub_co_i32 s9, s10, s9
	s_wait_alu 0xfffe
	s_sub_co_i32 s15, s9, s12
	s_cmp_ge_u32 s9, s12
	s_cselect_b32 s8, s14, s8
	s_wait_alu 0xfffe
	s_cselect_b32 s9, s15, s9
	s_add_co_i32 s14, s8, 1
	s_wait_alu 0xfffe
	s_cmp_ge_u32 s9, s12
	s_cselect_b32 s16, s14, s8
.LBB0_2:
	s_load_b64 s[22:23], s[4:5], 0x10
	s_load_b64 s[14:15], s[6:7], 0x8
	s_mov_b64 s[18:19], s[16:17]
	s_wait_kmcnt 0x0
	v_cmp_lt_u64_e64 s4, s[16:17], s[22:23]
	s_delay_alu instid0(VALU_DEP_1)
	s_and_b32 vcc_lo, exec_lo, s4
	s_cbranch_vccnz .LBB0_4
; %bb.3:
	v_cvt_f32_u32_e32 v1, s22
	s_sub_co_i32 s5, 0, s22
	s_mov_b32 s19, 0
	s_delay_alu instid0(VALU_DEP_1) | instskip(NEXT) | instid1(TRANS32_DEP_1)
	v_rcp_iflag_f32_e32 v1, v1
	v_mul_f32_e32 v1, 0x4f7ffffe, v1
	s_delay_alu instid0(VALU_DEP_1) | instskip(NEXT) | instid1(VALU_DEP_1)
	v_cvt_u32_f32_e32 v1, v1
	v_readfirstlane_b32 s4, v1
	s_delay_alu instid0(VALU_DEP_1) | instskip(NEXT) | instid1(SALU_CYCLE_1)
	s_mul_i32 s5, s5, s4
	s_mul_hi_u32 s5, s4, s5
	s_delay_alu instid0(SALU_CYCLE_1) | instskip(NEXT) | instid1(SALU_CYCLE_1)
	s_add_co_i32 s4, s4, s5
	s_mul_hi_u32 s4, s16, s4
	s_delay_alu instid0(SALU_CYCLE_1) | instskip(NEXT) | instid1(SALU_CYCLE_1)
	s_mul_i32 s4, s4, s22
	s_sub_co_i32 s4, s16, s4
	s_delay_alu instid0(SALU_CYCLE_1) | instskip(SKIP_2) | instid1(SALU_CYCLE_1)
	s_sub_co_i32 s5, s4, s22
	s_cmp_ge_u32 s4, s22
	s_cselect_b32 s4, s5, s4
	s_sub_co_i32 s5, s4, s22
	s_cmp_ge_u32 s4, s22
	s_cselect_b32 s18, s5, s4
.LBB0_4:
	s_load_b64 s[4:5], s[0:1], 0x50
	s_clause 0x1
	s_load_b64 s[8:9], s[6:7], 0x0
	s_load_b64 s[20:21], s[6:7], 0x10
	s_mul_u64 s[24:25], s[22:23], s[12:13]
	s_mov_b64 s[22:23], 0
	s_wait_kmcnt 0x0
	v_cmp_lt_u64_e64 s9, s[10:11], s[24:25]
	s_delay_alu instid0(VALU_DEP_1)
	s_and_b32 vcc_lo, exec_lo, s9
	s_cbranch_vccnz .LBB0_6
; %bb.5:
	v_cvt_f32_u32_e32 v1, s24
	s_sub_co_i32 s22, 0, s24
	s_delay_alu instid0(VALU_DEP_1) | instskip(NEXT) | instid1(TRANS32_DEP_1)
	v_rcp_iflag_f32_e32 v1, v1
	v_mul_f32_e32 v1, 0x4f7ffffe, v1
	s_delay_alu instid0(VALU_DEP_1) | instskip(NEXT) | instid1(VALU_DEP_1)
	v_cvt_u32_f32_e32 v1, v1
	v_readfirstlane_b32 s9, v1
	s_wait_alu 0xfffe
	s_delay_alu instid0(VALU_DEP_1)
	s_mul_i32 s22, s22, s9
	s_wait_alu 0xfffe
	s_mul_hi_u32 s22, s9, s22
	s_wait_alu 0xfffe
	s_add_co_i32 s9, s9, s22
	s_wait_alu 0xfffe
	s_mul_hi_u32 s9, s10, s9
	s_wait_alu 0xfffe
	s_mul_i32 s22, s9, s24
	s_add_co_i32 s23, s9, 1
	s_wait_alu 0xfffe
	s_sub_co_i32 s22, s10, s22
	s_wait_alu 0xfffe
	s_sub_co_i32 s25, s22, s24
	s_cmp_ge_u32 s22, s24
	s_cselect_b32 s9, s23, s9
	s_wait_alu 0xfffe
	s_cselect_b32 s22, s25, s22
	s_add_co_i32 s25, s9, 1
	s_wait_alu 0xfffe
	s_cmp_ge_u32 s22, s24
	s_mov_b32 s23, 0
	s_cselect_b32 s22, s25, s9
.LBB0_6:
	v_mul_u32_u24_e32 v1, 0xc31, v0
	s_load_b64 s[6:7], s[6:7], 0x18
	s_mul_u64 s[12:13], s[16:17], s[12:13]
	v_mov_b32_e32 v8, 0
	s_wait_alu 0xfffe
	s_sub_nc_u64 s[10:11], s[10:11], s[12:13]
	v_lshrrev_b32_e32 v76, 16, v1
	s_wait_alu 0xfffe
	s_mul_u64 s[10:11], s[10:11], 21
	s_mul_u64 s[12:13], s[20:21], s[18:19]
	s_wait_alu 0xfffe
	s_add_nc_u64 s[18:19], s[10:11], 21
	s_mul_u64 s[16:17], s[14:15], s[10:11]
	v_mul_lo_u16 v1, v76, 21
	s_wait_alu 0xfffe
	s_add_nc_u64 s[12:13], s[12:13], s[16:17]
	s_delay_alu instid0(VALU_DEP_1) | instskip(NEXT) | instid1(VALU_DEP_1)
	v_sub_nc_u16 v1, v0, v1
	v_and_b32_e32 v22, 0xffff, v1
	s_wait_kmcnt 0x0
	s_mul_u64 s[6:7], s[6:7], s[22:23]
	s_delay_alu instid0(VALU_DEP_1) | instskip(NEXT) | instid1(VALU_DEP_1)
	v_mad_co_u64_u32 v[15:16], null, s14, v22, 0
	v_mov_b32_e32 v1, v16
	v_add_co_u32 v13, s9, s10, v22
	s_wait_alu 0xf1ff
	v_add_co_ci_u32_e64 v14, null, s11, 0, s9
	v_cmp_le_u64_e64 s9, s[18:19], s[2:3]
	v_mad_co_u64_u32 v[1:2], null, s15, v22, v[1:2]
	s_delay_alu instid0(VALU_DEP_3)
	v_cmp_gt_u64_e32 vcc_lo, s[2:3], v[13:14]
	v_dual_mov_b32 v2, 0 :: v_dual_mov_b32 v1, 0
	s_wait_alu 0xfffe
	s_add_nc_u64 s[10:11], s[6:7], s[12:13]
	s_or_b32 s3, s9, vcc_lo
	s_wait_alu 0xfffe
	s_and_saveexec_b32 s6, s3
	s_cbranch_execz .LBB0_8
; %bb.7:
	v_mul_lo_u32 v1, s8, v76
	v_mov_b32_e32 v2, 0
	s_delay_alu instid0(VALU_DEP_2) | instskip(NEXT) | instid1(VALU_DEP_1)
	v_add3_u32 v1, s10, v15, v1
	v_lshlrev_b64_e32 v[1:2], 3, v[1:2]
	s_delay_alu instid0(VALU_DEP_1) | instskip(SKIP_1) | instid1(VALU_DEP_2)
	v_add_co_u32 v1, s2, s4, v1
	s_wait_alu 0xf1ff
	v_add_co_ci_u32_e64 v2, s2, s5, v2, s2
	global_load_b64 v[1:2], v[1:2], off
.LBB0_8:
	s_or_b32 exec_lo, exec_lo, s6
	v_dual_mov_b32 v7, 0 :: v_dual_add_nc_u32 v14, 12, v76
	s_and_saveexec_b32 s6, s3
	s_cbranch_execz .LBB0_10
; %bb.9:
	s_delay_alu instid0(VALU_DEP_1) | instskip(SKIP_1) | instid1(VALU_DEP_2)
	v_mul_lo_u32 v3, s8, v14
	v_mov_b32_e32 v4, 0
	v_add3_u32 v3, s10, v15, v3
	s_delay_alu instid0(VALU_DEP_1) | instskip(NEXT) | instid1(VALU_DEP_1)
	v_lshlrev_b64_e32 v[3:4], 3, v[3:4]
	v_add_co_u32 v3, s2, s4, v3
	s_wait_alu 0xf1ff
	s_delay_alu instid0(VALU_DEP_2)
	v_add_co_ci_u32_e64 v4, s2, s5, v4, s2
	global_load_b64 v[7:8], v[3:4], off
.LBB0_10:
	s_or_b32 exec_lo, exec_lo, s6
	v_dual_mov_b32 v11, 0 :: v_dual_add_nc_u32 v24, 24, v76
	v_mov_b32_e32 v10, 0
	v_mov_b32_e32 v12, 0
	s_and_saveexec_b32 s6, s3
	s_cbranch_execz .LBB0_12
; %bb.11:
	v_mul_lo_u32 v3, s8, v24
	v_mov_b32_e32 v4, 0
	s_delay_alu instid0(VALU_DEP_2) | instskip(NEXT) | instid1(VALU_DEP_1)
	v_add3_u32 v3, s10, v15, v3
	v_lshlrev_b64_e32 v[3:4], 3, v[3:4]
	s_delay_alu instid0(VALU_DEP_1) | instskip(SKIP_1) | instid1(VALU_DEP_2)
	v_add_co_u32 v3, s2, s4, v3
	s_wait_alu 0xf1ff
	v_add_co_ci_u32_e64 v4, s2, s5, v4, s2
	global_load_b64 v[11:12], v[3:4], off
.LBB0_12:
	s_or_b32 exec_lo, exec_lo, s6
	v_add_nc_u32_e32 v25, 36, v76
	v_mov_b32_e32 v9, 0
	s_and_saveexec_b32 s6, s3
	s_cbranch_execz .LBB0_14
; %bb.13:
	s_delay_alu instid0(VALU_DEP_2) | instskip(SKIP_1) | instid1(VALU_DEP_2)
	v_mul_lo_u32 v3, s8, v25
	v_mov_b32_e32 v4, 0
	v_add3_u32 v3, s10, v15, v3
	s_delay_alu instid0(VALU_DEP_1) | instskip(NEXT) | instid1(VALU_DEP_1)
	v_lshlrev_b64_e32 v[3:4], 3, v[3:4]
	v_add_co_u32 v3, s2, s4, v3
	s_wait_alu 0xf1ff
	s_delay_alu instid0(VALU_DEP_2)
	v_add_co_ci_u32_e64 v4, s2, s5, v4, s2
	global_load_b64 v[9:10], v[3:4], off
.LBB0_14:
	s_or_b32 exec_lo, exec_lo, s6
	v_or_b32_e32 v26, 48, v76
	v_dual_mov_b32 v4, 0 :: v_dual_mov_b32 v5, 0
	v_mov_b32_e32 v6, 0
	s_and_saveexec_b32 s6, s3
	s_cbranch_execz .LBB0_16
; %bb.15:
	v_mul_lo_u32 v3, s8, v26
	v_mov_b32_e32 v6, 0
	s_delay_alu instid0(VALU_DEP_2) | instskip(NEXT) | instid1(VALU_DEP_1)
	v_add3_u32 v5, s10, v15, v3
	v_lshlrev_b64_e32 v[5:6], 3, v[5:6]
	s_delay_alu instid0(VALU_DEP_1) | instskip(SKIP_1) | instid1(VALU_DEP_2)
	v_add_co_u32 v5, s2, s4, v5
	s_wait_alu 0xf1ff
	v_add_co_ci_u32_e64 v6, s2, s5, v6, s2
	global_load_b64 v[5:6], v[5:6], off
.LBB0_16:
	s_or_b32 exec_lo, exec_lo, s6
	v_mov_b32_e32 v3, 0
	s_and_saveexec_b32 s6, s3
	s_cbranch_execz .LBB0_18
; %bb.17:
	v_dual_mov_b32 v4, 0 :: v_dual_add_nc_u32 v3, 60, v76
	s_delay_alu instid0(VALU_DEP_1) | instskip(NEXT) | instid1(VALU_DEP_1)
	v_mul_lo_u32 v3, s8, v3
	v_add3_u32 v3, s10, v15, v3
	s_delay_alu instid0(VALU_DEP_1) | instskip(NEXT) | instid1(VALU_DEP_1)
	v_lshlrev_b64_e32 v[3:4], 3, v[3:4]
	v_add_co_u32 v3, s2, s4, v3
	s_wait_alu 0xf1ff
	s_delay_alu instid0(VALU_DEP_2)
	v_add_co_ci_u32_e64 v4, s2, s5, v4, s2
	global_load_b64 v[3:4], v[3:4], off
.LBB0_18:
	s_or_b32 exec_lo, exec_lo, s6
	v_dual_mov_b32 v19, 0 :: v_dual_mov_b32 v16, 0
	v_mov_b32_e32 v17, 0
	s_and_saveexec_b32 s6, s3
	s_cbranch_execz .LBB0_20
; %bb.19:
	v_dual_mov_b32 v17, 0 :: v_dual_add_nc_u32 v16, 0x48, v76
	s_delay_alu instid0(VALU_DEP_1) | instskip(NEXT) | instid1(VALU_DEP_1)
	v_mul_lo_u32 v16, s8, v16
	v_add3_u32 v16, s10, v15, v16
	s_delay_alu instid0(VALU_DEP_1) | instskip(NEXT) | instid1(VALU_DEP_1)
	v_lshlrev_b64_e32 v[16:17], 3, v[16:17]
	v_add_co_u32 v16, s2, s4, v16
	s_wait_alu 0xf1ff
	s_delay_alu instid0(VALU_DEP_2)
	v_add_co_ci_u32_e64 v17, s2, s5, v17, s2
	global_load_b64 v[16:17], v[16:17], off
.LBB0_20:
	s_or_b32 exec_lo, exec_lo, s6
	v_mov_b32_e32 v18, 0
	s_and_saveexec_b32 s6, s3
	s_cbranch_execz .LBB0_22
; %bb.21:
	v_dual_mov_b32 v19, 0 :: v_dual_add_nc_u32 v18, 0x54, v76
	s_delay_alu instid0(VALU_DEP_1) | instskip(NEXT) | instid1(VALU_DEP_1)
	v_mul_lo_u32 v18, s8, v18
	v_add3_u32 v18, s10, v15, v18
	s_delay_alu instid0(VALU_DEP_1) | instskip(NEXT) | instid1(VALU_DEP_1)
	v_lshlrev_b64_e32 v[18:19], 3, v[18:19]
	v_add_co_u32 v18, s2, s4, v18
	s_wait_alu 0xf1ff
	s_delay_alu instid0(VALU_DEP_2)
	v_add_co_ci_u32_e64 v19, s2, s5, v19, s2
	global_load_b64 v[18:19], v[18:19], off
.LBB0_22:
	s_or_b32 exec_lo, exec_lo, s6
	s_load_b64 s[6:7], s[0:1], 0x0
	v_dual_mov_b32 v21, 0 :: v_dual_mov_b32 v20, 0
	s_and_saveexec_b32 s11, s3
	s_cbranch_execz .LBB0_24
; %bb.23:
	v_or_b32_e32 v20, 0x60, v76
	v_mov_b32_e32 v21, 0
	s_delay_alu instid0(VALU_DEP_2) | instskip(NEXT) | instid1(VALU_DEP_1)
	v_mul_lo_u32 v20, s8, v20
	v_add3_u32 v20, s10, v15, v20
	s_delay_alu instid0(VALU_DEP_1) | instskip(NEXT) | instid1(VALU_DEP_1)
	v_lshlrev_b64_e32 v[20:21], 3, v[20:21]
	v_add_co_u32 v20, s2, s4, v20
	s_wait_alu 0xf1ff
	s_delay_alu instid0(VALU_DEP_2)
	v_add_co_ci_u32_e64 v21, s2, s5, v21, s2
	global_load_b64 v[20:21], v[20:21], off
.LBB0_24:
	s_wait_alu 0xfffe
	s_or_b32 exec_lo, exec_lo, s11
	s_wait_loadcnt 0x0
	v_dual_add_f32 v23, v7, v20 :: v_dual_sub_f32 v32, v12, v19
	v_dual_add_f32 v27, v8, v21 :: v_dual_sub_f32 v20, v7, v20
	v_dual_sub_f32 v21, v8, v21 :: v_dual_sub_f32 v30, v11, v18
	v_dual_add_f32 v28, v11, v18 :: v_dual_add_f32 v29, v12, v19
	s_delay_alu instid0(VALU_DEP_2) | instskip(NEXT) | instid1(VALU_DEP_4)
	v_dual_mul_f32 v11, 0x3f248dbb, v20 :: v_dual_mul_f32 v12, 0x3f248dbb, v21
	v_dual_add_f32 v31, v9, v16 :: v_dual_fmamk_f32 v8, v27, 0x3f441b7d, v2
	v_sub_f32_e32 v33, v10, v17
	v_dual_fmamk_f32 v7, v23, 0x3f441b7d, v1 :: v_dual_sub_f32 v34, v5, v3
	v_dual_add_f32 v17, v10, v17 :: v_dual_add_f32 v36, v5, v3
	v_add_f32_e32 v37, v6, v4
	v_dual_sub_f32 v16, v9, v16 :: v_dual_fmac_f32 v11, 0x3f7c1c5c, v30
	v_fmac_f32_e32 v12, 0x3f7c1c5c, v32
	v_dual_fmac_f32 v7, 0x3e31d0d4, v28 :: v_dual_fmac_f32 v8, 0x3e31d0d4, v29
	v_sub_f32_e32 v35, v6, v4
	v_dual_fmamk_f32 v9, v36, 0x3f441b7d, v1 :: v_dual_fmamk_f32 v10, v37, 0x3f441b7d, v2
	s_delay_alu instid0(VALU_DEP_4) | instskip(NEXT) | instid1(VALU_DEP_4)
	v_dual_fmac_f32 v11, 0x3f5db3d7, v16 :: v_dual_fmac_f32 v12, 0x3f5db3d7, v33
	v_dual_fmac_f32 v7, -0.5, v31 :: v_dual_mul_f32 v38, 0xbf248dbb, v34
	v_fmac_f32_e32 v8, -0.5, v17
	s_delay_alu instid0(VALU_DEP_4) | instskip(SKIP_2) | instid1(VALU_DEP_4)
	v_fmac_f32_e32 v10, 0x3e31d0d4, v27
	v_mul_f32_e32 v39, 0xbf248dbb, v35
	v_dual_fmac_f32 v11, 0x3eaf1d44, v34 :: v_dual_fmac_f32 v12, 0x3eaf1d44, v35
	v_dual_fmac_f32 v7, 0xbf708fb2, v36 :: v_dual_fmac_f32 v8, 0xbf708fb2, v37
	s_delay_alu instid0(VALU_DEP_4) | instskip(NEXT) | instid1(VALU_DEP_4)
	v_fmac_f32_e32 v10, -0.5, v17
	v_dual_fmac_f32 v38, 0x3f7c1c5c, v20 :: v_dual_fmac_f32 v39, 0x3f7c1c5c, v21
	s_delay_alu instid0(VALU_DEP_3) | instskip(NEXT) | instid1(VALU_DEP_4)
	v_add_f32_e32 v7, v12, v7
	v_sub_f32_e32 v8, v8, v11
	s_delay_alu instid0(VALU_DEP_4) | instskip(NEXT) | instid1(VALU_DEP_4)
	v_dual_fmac_f32 v10, 0xbf708fb2, v29 :: v_dual_add_f32 v41, v29, v27
	v_dual_fmac_f32 v38, 0xbf5db3d7, v16 :: v_dual_fmac_f32 v39, 0xbf5db3d7, v33
	s_delay_alu instid0(VALU_DEP_4) | instskip(SKIP_2) | instid1(VALU_DEP_4)
	v_fma_f32 v18, -2.0, v12, v7
	v_add_f32_e32 v12, v34, v20
	v_add_f32_e32 v40, v28, v23
	v_dual_fmac_f32 v38, 0x3eaf1d44, v30 :: v_dual_fmac_f32 v39, 0x3eaf1d44, v32
	v_dual_fmac_f32 v9, 0x3e31d0d4, v23 :: v_dual_add_f32 v44, v17, v41
	s_delay_alu instid0(VALU_DEP_2) | instskip(NEXT) | instid1(VALU_DEP_2)
	v_dual_add_f32 v43, v31, v40 :: v_dual_sub_f32 v10, v10, v38
	v_dual_add_f32 v42, v35, v21 :: v_dual_fmac_f32 v9, -0.5, v31
	s_delay_alu instid0(VALU_DEP_2) | instskip(SKIP_1) | instid1(VALU_DEP_3)
	v_dual_add_f32 v44, v6, v44 :: v_dual_add_f32 v43, v5, v43
	v_dual_add_f32 v5, v1, v31 :: v_dual_add_f32 v6, v2, v17
	v_fmac_f32_e32 v9, 0xbf708fb2, v28
	s_delay_alu instid0(VALU_DEP_3) | instskip(SKIP_2) | instid1(VALU_DEP_4)
	v_dual_add_f32 v4, v4, v44 :: v_dual_add_f32 v3, v3, v43
	v_mul_f32_e32 v34, 0x3f7c1c5c, v34
	v_dual_add_f32 v40, v36, v40 :: v_dual_mul_f32 v35, 0x3f7c1c5c, v35
	v_dual_add_f32 v9, v39, v9 :: v_dual_sub_f32 v42, v42, v32
	s_delay_alu instid0(VALU_DEP_4) | instskip(SKIP_2) | instid1(VALU_DEP_4)
	v_add_f32_e32 v3, v1, v3
	v_dual_fmac_f32 v1, 0x3f441b7d, v28 :: v_dual_add_f32 v28, v37, v41
	v_fma_f32 v19, 2.0, v11, v8
	v_fma_f32 v11, -2.0, v39, v9
	v_sub_f32_e32 v39, v12, v30
	s_delay_alu instid0(VALU_DEP_4)
	v_fmac_f32_e32 v1, 0x3e31d0d4, v36
	v_add_f32_e32 v4, v2, v4
	v_fmac_f32_e32 v2, 0x3f441b7d, v29
	v_fma_f32 v29, 0xbf248dbb, v30, -v34
	v_fma_f32 v30, 0xbf248dbb, v32, -v35
	v_fmac_f32_e32 v1, -0.5, v31
	s_delay_alu instid0(VALU_DEP_4) | instskip(NEXT) | instid1(VALU_DEP_3)
	v_dual_fmac_f32 v5, -0.5, v40 :: v_dual_fmac_f32 v2, 0x3e31d0d4, v37
	v_dual_fmac_f32 v29, 0x3f5db3d7, v16 :: v_dual_fmac_f32 v30, 0x3f5db3d7, v33
	s_delay_alu instid0(VALU_DEP_3) | instskip(NEXT) | instid1(VALU_DEP_2)
	v_dual_fmac_f32 v6, -0.5, v28 :: v_dual_fmac_f32 v1, 0xbf708fb2, v23
	v_dual_fmac_f32 v2, -0.5, v17 :: v_dual_fmac_f32 v29, 0x3eaf1d44, v20
	s_delay_alu instid0(VALU_DEP_3) | instskip(SKIP_1) | instid1(VALU_DEP_3)
	v_dual_fmac_f32 v30, 0x3eaf1d44, v21 :: v_dual_lshlrev_b32 v31, 3, v22
	v_mad_u32_u24 v23, 0x5e8, v76, 0
	v_fmac_f32_e32 v2, 0xbf708fb2, v27
	v_fma_f32 v12, 2.0, v38, v10
	s_delay_alu instid0(VALU_DEP_4) | instskip(SKIP_1) | instid1(VALU_DEP_4)
	v_add_f32_e32 v1, v30, v1
	v_fmac_f32_e32 v5, 0x3f5db3d7, v42
	v_dual_sub_f32 v2, v2, v29 :: v_dual_add_nc_u32 v27, v23, v31
	v_dual_mul_f32 v38, 0x3f5db3d7, v39 :: v_dual_mul_f32 v45, 0x3f5db3d7, v42
	v_fmac_f32_e32 v6, 0xbf5db3d7, v39
	ds_store_2addr_b64 v27, v[3:4], v[7:8] offset1:21
	v_mad_i32_i24 v3, 0xfffffac0, v76, v23
	v_fma_f32 v20, -2.0, v30, v1
	v_fma_f32 v21, 2.0, v29, v2
	v_fma_f32 v16, -2.0, v45, v5
	v_fma_f32 v17, 2.0, v38, v6
	v_add_nc_u32_e32 v30, v3, v31
	ds_store_2addr_b64 v27, v[9:10], v[5:6] offset0:42 offset1:63
	ds_store_2addr_b64 v27, v[1:2], v[20:21] offset0:84 offset1:105
	;; [unrolled: 1-line block ×3, first 2 shown]
	ds_store_b64 v27, v[18:19] offset:1344
	v_add_nc_u32_e32 v27, 0x17a0, v3
	global_wb scope:SCOPE_SE
	s_wait_dscnt 0x0
	v_add_nc_u32_e32 v5, 0x2360, v30
	v_add_nc_u32_e32 v6, 0x3320, v30
	s_wait_kmcnt 0x0
	s_barrier_signal -1
	v_add_nc_u32_e32 v32, v27, v31
	s_barrier_wait -1
	global_inv scope:SCOPE_SE
	ds_load_2addr_b64 v[1:4], v30 offset1:252
	ds_load_2addr_b64 v[9:12], v5 offset0:2 offset1:254
	ds_load_2addr_b64 v[5:8], v6 offset0:2 offset1:254
	ds_load_b64 v[20:21], v30 offset:4032
	ds_load_b32 v28, v32
	ds_load_b64 v[16:17], v32
	ds_load_b32 v29, v32 offset:4
	v_cmp_gt_u32_e64 s2, 0x7e, v0
                                        ; implicit-def: $vgpr23
	s_delay_alu instid0(VALU_DEP_1)
	s_and_saveexec_b32 s11, s2
	s_cbranch_execz .LBB0_26
; %bb.25:
	v_lshl_add_u32 v18, v22, 3, v27
	s_delay_alu instid0(VALU_DEP_1)
	v_add_nc_u32_e32 v18, 0x400, v18
	ds_load_2addr_b32 v[18:19], v18 offset0:248 offset1:249
	ds_load_b64 v[22:23], v30 offset:17136
.LBB0_26:
	s_wait_alu 0xfffe
	s_or_b32 exec_lo, exec_lo, s11
	v_mul_lo_u16 v27, v76, 29
	v_mul_lo_u16 v33, v14, 29
	v_mul_lo_u16 v34, v24, 57
	v_mul_lo_u16 v35, v25, 57
	s_delay_alu instid0(VALU_DEP_4) | instskip(NEXT) | instid1(VALU_DEP_4)
	v_lshrrev_b16 v27, 8, v27
	v_lshrrev_b16 v41, 8, v33
	v_mul_lo_u16 v33, v26, 57
	v_lshrrev_b16 v42, 9, v34
	v_lshrrev_b16 v43, 9, v35
	v_mul_lo_u16 v34, v27, 9
	v_mul_lo_u16 v35, v41, 9
	v_lshrrev_b16 v33, 9, v33
	v_mul_lo_u16 v36, v42, 9
	v_and_b32_e32 v41, 0xffff, v41
	v_sub_nc_u16 v44, v76, v34
	v_mul_lo_u16 v34, v43, 9
	v_mul_lo_u16 v33, v33, 9
	v_sub_nc_u16 v24, v24, v36
	v_sub_nc_u16 v35, v14, v35
	v_and_b32_e32 v36, 0xff, v44
	v_sub_nc_u16 v25, v25, v34
	v_sub_nc_u16 v26, v26, v33
	v_and_b32_e32 v46, 0xff, v24
	v_mad_u16 v27, v27, 18, v44
	v_lshlrev_b32_e32 v33, 3, v36
	v_and_b32_e32 v47, 0xff, v25
	v_and_b32_e32 v24, 0xff, v26
	;; [unrolled: 1-line block ×4, first 2 shown]
	global_load_b64 v[25:26], v33, s[6:7]
	v_and_b32_e32 v45, 0xff, v35
	v_lshlrev_b32_e32 v35, 3, v46
	v_lshlrev_b32_e32 v37, 3, v47
	v_mul_u32_u24_e32 v27, 0xa8, v27
	v_mad_u32_u24 v42, v42, 18, v46
	s_delay_alu instid0(VALU_DEP_2) | instskip(NEXT) | instid1(VALU_DEP_2)
	v_add3_u32 v44, 0, v27, v31
	v_mul_u32_u24_e32 v42, 0xa8, v42
	s_delay_alu instid0(VALU_DEP_1)
	v_add3_u32 v42, 0, v42, v31
	s_wait_loadcnt_dscnt 0x5
	v_mul_f32_e32 v27, v26, v10
	v_mul_f32_e32 v26, v26, v9
	v_lshlrev_b32_e32 v34, 3, v45
	v_mad_u32_u24 v41, v41, 18, v45
	v_and_b32_e32 v43, 0xffff, v43
	v_fma_f32 v9, v25, v9, -v27
	v_fmac_f32_e32 v26, v25, v10
	global_load_b64 v[33:34], v34, s[6:7]
	v_mul_u32_u24_e32 v41, 0xa8, v41
	s_delay_alu instid0(VALU_DEP_1)
	v_add3_u32 v41, 0, v41, v31
	s_wait_loadcnt 0x0
	v_mul_f32_e32 v45, v34, v12
	v_lshlrev_b32_e32 v39, 3, v24
	s_clause 0x2
	global_load_b64 v[35:36], v35, s[6:7]
	global_load_b64 v[37:38], v37, s[6:7]
	;; [unrolled: 1-line block ×3, first 2 shown]
	v_fma_f32 v10, v33, v11, -v45
	v_mul_f32_e32 v34, v34, v11
	global_wb scope:SCOPE_SE
	s_wait_loadcnt_dscnt 0x0
	s_barrier_signal -1
	s_barrier_wait -1
	global_inv scope:SCOPE_SE
	v_fmac_f32_e32 v34, v33, v12
	v_mul_f32_e32 v46, v36, v6
	v_mad_u32_u24 v43, v43, 18, v47
	v_mul_f32_e32 v47, v38, v8
	v_mul_f32_e32 v38, v38, v7
	;; [unrolled: 1-line block ×5, first 2 shown]
	v_fma_f32 v25, v37, v7, -v47
	v_dual_fmac_f32 v38, v37, v8 :: v_dual_sub_f32 v7, v3, v10
	v_fma_f32 v22, v22, v39, -v48
	v_fmac_f32_e32 v40, v23, v39
	v_fma_f32 v11, v35, v5, -v46
	s_delay_alu instid0(VALU_DEP_4) | instskip(SKIP_1) | instid1(VALU_DEP_4)
	v_sub_f32_e32 v27, v17, v38
	v_dual_fmac_f32 v36, v35, v6 :: v_dual_sub_f32 v5, v1, v9
	v_dual_sub_f32 v6, v2, v26 :: v_dual_sub_f32 v17, v19, v40
	v_sub_f32_e32 v26, v16, v25
	v_sub_f32_e32 v16, v18, v22
	;; [unrolled: 1-line block ×3, first 2 shown]
	v_dual_sub_f32 v11, v20, v11 :: v_dual_sub_f32 v12, v21, v36
	v_mul_u32_u24_e32 v43, 0xa8, v43
	v_fma_f32 v1, v1, 2.0, -v5
	v_fma_f32 v2, v2, 2.0, -v6
	v_fma_f32 v9, v28, 2.0, -v26
	v_fma_f32 v10, v29, 2.0, -v27
	v_fma_f32 v28, v18, 2.0, -v16
	v_fma_f32 v29, v19, 2.0, -v17
	v_fma_f32 v3, v3, 2.0, -v7
	v_fma_f32 v4, v4, 2.0, -v8
	v_fma_f32 v20, v20, 2.0, -v11
	v_fma_f32 v21, v21, 2.0, -v12
	v_add3_u32 v43, 0, v43, v31
	ds_store_2addr_b64 v44, v[1:2], v[5:6] offset1:189
	ds_store_2addr_b64 v41, v[3:4], v[7:8] offset1:189
	;; [unrolled: 1-line block ×4, first 2 shown]
	s_and_saveexec_b32 s11, s2
	s_cbranch_execz .LBB0_28
; %bb.27:
	v_mul_u32_u24_e32 v1, 0xa8, v24
	s_delay_alu instid0(VALU_DEP_1) | instskip(NEXT) | instid1(VALU_DEP_1)
	v_add3_u32 v1, 0, v1, v31
	v_add_nc_u32_e32 v1, 0x3a00, v1
	ds_store_2addr_b64 v1, v[28:29], v[16:17] offset0:34 offset1:223
.LBB0_28:
	s_wait_alu 0xfffe
	s_or_b32 exec_lo, exec_lo, s11
	global_wb scope:SCOPE_SE
	s_wait_dscnt 0x0
	s_barrier_signal -1
	s_barrier_wait -1
	global_inv scope:SCOPE_SE
	ds_load_b64 v[64:65], v30
	ds_load_b64 v[66:67], v30 offset:3024
	ds_load_b64 v[68:69], v30 offset:9072
	;; [unrolled: 1-line block ×3, first 2 shown]
	ds_load_b64 v[74:75], v32
	ds_load_b64 v[70:71], v30 offset:15120
                                        ; implicit-def: $vgpr43
                                        ; implicit-def: $vgpr51
	s_and_saveexec_b32 s11, s2
	s_cbranch_execz .LBB0_30
; %bb.29:
	v_add_nc_u32_e32 v1, 0x7e0, v30
	ds_load_b64 v[26:27], v30 offset:5040
	ds_load_b64 v[28:29], v30 offset:8064
	;; [unrolled: 1-line block ×4, first 2 shown]
	ds_load_b64 v[9:10], v1
	ds_load_b64 v[42:43], v30 offset:17136
.LBB0_30:
	s_wait_alu 0xfffe
	s_or_b32 exec_lo, exec_lo, s11
	v_mul_lo_u16 v1, v14, 15
	s_load_b64 s[0:1], s[0:1], 0x8
	s_delay_alu instid0(VALU_DEP_1) | instskip(NEXT) | instid1(VALU_DEP_1)
	v_lshrrev_b16 v12, 8, v1
	v_mul_lo_u16 v1, v12, 18
	s_delay_alu instid0(VALU_DEP_1) | instskip(NEXT) | instid1(VALU_DEP_1)
	v_sub_nc_u16 v1, v14, v1
	v_and_b32_e32 v11, 0xff, v1
	s_delay_alu instid0(VALU_DEP_1)
	v_add_nc_u32_e32 v3, 18, v11
	v_add_nc_u32_e32 v4, 36, v11
	v_mul_lo_u32 v2, v13, v11
	v_add_nc_u32_e32 v5, 54, v11
	v_mul_u32_u24_e32 v1, 5, v11
	v_mul_lo_u32 v18, v13, v3
	v_mul_lo_u32 v19, v13, v4
	v_add_nc_u32_e32 v6, 0x48, v11
	v_mul_lo_u32 v20, v13, v5
	v_add_nc_u32_e32 v11, 0x5a, v11
	v_and_b32_e32 v22, 0xff, v2
	v_lshrrev_b32_e32 v23, 5, v2
	v_lshrrev_b32_e32 v24, 13, v2
	v_and_b32_e32 v25, 0xff, v18
	v_lshrrev_b32_e32 v30, 5, v18
	v_lshrrev_b32_e32 v18, 13, v18
	;; [unrolled: 3-line block ×3, first 2 shown]
	v_lshlrev_b32_e32 v7, 3, v1
	v_mul_lo_u32 v21, v13, v6
	v_lshlrev_b32_e32 v22, 3, v22
	v_and_b32_e32 v33, 0xff, v20
	v_and_b32_e32 v23, 0x7f8, v23
	v_lshrrev_b32_e32 v34, 5, v20
	v_and_b32_e32 v24, 0x7f8, v24
	v_lshrrev_b32_e32 v20, 13, v20
	v_lshlrev_b32_e32 v25, 3, v25
	v_mul_lo_u32 v11, v13, v11
	v_and_b32_e32 v30, 0x7f8, v30
	v_and_b32_e32 v18, 0x7f8, v18
	;; [unrolled: 1-line block ×3, first 2 shown]
	s_clause 0x2
	global_load_b64 v[62:63], v7, s[6:7] offset:104
	global_load_b128 v[1:4], v7, s[6:7] offset:88
	global_load_b128 v[5:8], v7, s[6:7] offset:72
	v_lshlrev_b32_e32 v31, 3, v31
	v_and_b32_e32 v32, 0x7f8, v32
	s_wait_kmcnt 0x0
	s_clause 0x7
	global_load_b64 v[58:59], v22, s[0:1]
	global_load_b64 v[60:61], v23, s[0:1] offset:2048
	global_load_b64 v[56:57], v24, s[0:1] offset:4096
	global_load_b64 v[52:53], v25, s[0:1]
	global_load_b64 v[54:55], v30, s[0:1] offset:2048
	global_load_b64 v[36:37], v18, s[0:1] offset:4096
	global_load_b64 v[46:47], v31, s[0:1]
	global_load_b64 v[48:49], v32, s[0:1] offset:2048
	v_lshlrev_b32_e32 v18, 3, v33
	v_and_b32_e32 v22, 0x7f8, v34
	v_and_b32_e32 v20, 0x7f8, v20
	;; [unrolled: 1-line block ×3, first 2 shown]
	s_clause 0x3
	global_load_b64 v[44:45], v19, s[0:1] offset:4096
	global_load_b64 v[38:39], v18, s[0:1]
	global_load_b64 v[40:41], v22, s[0:1] offset:2048
	global_load_b64 v[30:31], v20, s[0:1] offset:4096
	v_lshrrev_b32_e32 v19, 5, v21
	v_lshrrev_b32_e32 v20, 13, v21
	v_and_b32_e32 v21, 0xff, v11
	v_lshrrev_b32_e32 v22, 5, v11
	v_lshlrev_b32_e32 v18, 3, v23
	v_lshrrev_b32_e32 v11, 13, v11
	v_and_b32_e32 v19, 0x7f8, v19
	v_and_b32_e32 v20, 0x7f8, v20
	v_lshlrev_b32_e32 v21, 3, v21
	v_and_b32_e32 v22, 0x7f8, v22
	v_and_b32_e32 v11, 0x7f8, v11
	s_clause 0x5
	global_load_b64 v[32:33], v18, s[0:1]
	global_load_b64 v[34:35], v19, s[0:1] offset:2048
	global_load_b64 v[24:25], v20, s[0:1] offset:4096
	global_load_b64 v[20:21], v21, s[0:1]
	global_load_b64 v[22:23], v22, s[0:1] offset:2048
	global_load_b64 v[18:19], v11, s[0:1] offset:4096
	v_add_nc_u32_e32 v11, s10, v15
	s_and_saveexec_b32 s2, s3
	s_cbranch_execz .LBB0_32
; %bb.31:
	v_and_b32_e32 v15, 0xffff, v76
	s_delay_alu instid0(VALU_DEP_1) | instskip(NEXT) | instid1(VALU_DEP_1)
	v_mul_u32_u24_e32 v76, 5, v15
	v_lshlrev_b32_e32 v84, 3, v76
	s_clause 0x1
	global_load_b128 v[76:79], v84, s[6:7] offset:88
	global_load_b128 v[80:83], v84, s[6:7] offset:72
	s_wait_loadcnt_dscnt 0x103
	v_mul_f32_e32 v135, v77, v69
	s_wait_loadcnt 0x0
	v_mul_f32_e32 v134, v81, v67
	v_add_nc_u32_e32 v132, 0x5a, v15
	v_mad_co_u64_u32 v[122:123], null, s8, v15, v[11:12]
	v_dual_mov_b32 v123, 0 :: v_dual_add_nc_u32 v130, 0x48, v15
	v_add_nc_u32_e32 v128, 54, v15
	v_add_nc_u32_e32 v126, 36, v15
	;; [unrolled: 1-line block ×3, first 2 shown]
	v_mul_lo_u32 v110, v13, v15
	v_mul_lo_u32 v112, v13, v132
	v_mad_co_u64_u32 v[132:133], null, s8, v132, v[11:12]
	v_mov_b32_e32 v133, v123
	v_mul_lo_u32 v113, v13, v130
	v_mul_lo_u32 v114, v13, v128
	;; [unrolled: 1-line block ×4, first 2 shown]
	v_mad_co_u64_u32 v[124:125], null, s8, v124, v[11:12]
	v_mov_b32_e32 v125, v123
	v_mad_co_u64_u32 v[130:131], null, s8, v130, v[11:12]
	v_mov_b32_e32 v131, v123
	v_mad_co_u64_u32 v[126:127], null, s8, v126, v[11:12]
	v_dual_mov_b32 v127, v123 :: v_dual_and_b32 v86, 0xff, v110
	global_load_b64 v[84:85], v84, s[6:7] offset:104
	v_lshrrev_b32_e32 v87, 5, v110
	v_dual_mul_f32 v77, v77, v68 :: v_dual_lshlrev_b32 v86, 3, v86
	v_and_b32_e32 v92, 0xff, v113
	s_wait_dscnt 0x2
	v_dual_mul_f32 v15, v79, v73 :: v_dual_and_b32 v90, 0xff, v112
	v_and_b32_e32 v88, 0x7f8, v87
	s_clause 0x1
	global_load_b64 v[86:87], v86, s[0:1]
	global_load_b64 v[88:89], v88, s[0:1] offset:2048
	v_lshrrev_b32_e32 v93, 5, v113
	v_lshrrev_b32_e32 v95, 5, v114
	v_and_b32_e32 v96, 0xff, v115
	v_lshlrev_b32_e32 v101, 3, v92
	v_lshrrev_b32_e32 v91, 5, v112
	v_lshrrev_b32_e32 v110, 13, v110
	v_dual_mul_f32 v79, v79, v72 :: v_dual_and_b32 v94, 0xff, v114
	v_lshrrev_b32_e32 v97, 5, v115
	v_dual_mul_f32 v81, v81, v66 :: v_dual_and_b32 v98, 0xff, v13
	v_lshrrev_b32_e32 v99, 5, v13
	v_lshlrev_b32_e32 v90, 3, v90
	v_dual_fmac_f32 v77, v76, v69 :: v_dual_and_b32 v104, 0x7f8, v95
	v_dual_fmac_f32 v79, v78, v73 :: v_dual_and_b32 v100, 0x7f8, v91
	v_and_b32_e32 v110, 0x7f8, v110
	v_lshlrev_b32_e32 v103, 3, v94
	v_dual_fmac_f32 v81, v80, v67 :: v_dual_and_b32 v106, 0x7f8, v97
	v_and_b32_e32 v108, 0x7f8, v99
	v_lshrrev_b32_e32 v112, 13, v112
	v_lshrrev_b32_e32 v113, 13, v113
	;; [unrolled: 1-line block ×4, first 2 shown]
	v_fma_f32 v68, v76, v68, -v135
	v_lshrrev_b32_e32 v13, 13, v13
	v_fma_f32 v15, v78, v72, -v15
	v_and_b32_e32 v112, 0x7f8, v112
	v_and_b32_e32 v117, 0x7f8, v114
	v_fma_f32 v66, v80, v66, -v134
	v_and_b32_e32 v13, 0x7f8, v13
	v_mad_co_u64_u32 v[128:129], null, s8, v128, v[11:12]
	v_mov_b32_e32 v129, v123
	v_lshlrev_b64_e32 v[122:123], 3, v[122:123]
	v_lshlrev_b64_e32 v[124:125], 3, v[124:125]
	;; [unrolled: 1-line block ×6, first 2 shown]
	s_wait_loadcnt_dscnt 0x200
	v_mul_f32_e32 v136, v85, v71
	v_dual_mul_f32 v85, v85, v70 :: v_dual_and_b32 v102, 0x7f8, v93
	s_delay_alu instid0(VALU_DEP_2) | instskip(NEXT) | instid1(VALU_DEP_2)
	v_fma_f32 v70, v84, v70, -v136
	v_fmac_f32_e32 v85, v84, v71
	v_lshlrev_b32_e32 v105, 3, v96
	v_lshlrev_b32_e32 v107, 3, v98
	s_delay_alu instid0(VALU_DEP_4)
	v_dual_add_f32 v73, v68, v70 :: v_dual_and_b32 v116, 0x7f8, v113
	s_wait_loadcnt 0x0
	v_mul_f32_e32 v67, v87, v89
	v_add_f32_e32 v76, v77, v85
	s_clause 0x9
	global_load_b64 v[90:91], v90, s[0:1]
	global_load_b64 v[92:93], v100, s[0:1] offset:2048
	global_load_b64 v[94:95], v101, s[0:1]
	global_load_b64 v[96:97], v102, s[0:1] offset:2048
	global_load_b64 v[98:99], v103, s[0:1]
	global_load_b64 v[100:101], v104, s[0:1] offset:2048
	global_load_b64 v[102:103], v105, s[0:1]
	global_load_b64 v[104:105], v106, s[0:1] offset:2048
	global_load_b64 v[106:107], v107, s[0:1]
	global_load_b64 v[108:109], v108, s[0:1] offset:2048
	v_mul_f32_e32 v69, v86, v89
	s_clause 0x1
	global_load_b64 v[110:111], v110, s[0:1] offset:4096
	global_load_b64 v[112:113], v112, s[0:1] offset:4096
	v_and_b32_e32 v118, 0x7f8, v115
	s_clause 0x3
	global_load_b64 v[114:115], v116, s[0:1] offset:4096
	global_load_b64 v[116:117], v117, s[0:1] offset:4096
	;; [unrolled: 1-line block ×4, first 2 shown]
	v_mul_f32_e32 v13, v83, v75
	v_mul_f32_e32 v83, v83, v74
	v_fma_f32 v67, v86, v88, -v67
	v_add_co_u32 v122, s0, s4, v122
	s_delay_alu instid0(VALU_DEP_4) | instskip(NEXT) | instid1(VALU_DEP_4)
	v_fma_f32 v13, v82, v74, -v13
	v_fmac_f32_e32 v83, v82, v75
	v_dual_sub_f32 v75, v68, v70 :: v_dual_sub_f32 v74, v77, v85
	v_dual_add_f32 v77, v81, v77 :: v_dual_add_f32 v68, v66, v68
	s_delay_alu instid0(VALU_DEP_3)
	v_add_f32_e32 v72, v83, v79
	v_sub_f32_e32 v71, v13, v15
	v_add_f32_e32 v78, v13, v15
	v_sub_f32_e32 v80, v83, v79
	v_dual_add_f32 v82, v65, v83 :: v_dual_add_f32 v13, v64, v13
	v_fma_f32 v72, -0.5, v72, v65
	v_fma_f32 v66, -0.5, v73, v66
	v_fma_f32 v73, -0.5, v76, v81
	v_fma_f32 v76, -0.5, v78, v64
	v_add_co_ci_u32_e64 v123, s0, s5, v123, s0
	v_add_co_u32 v124, s0, s4, v124
	s_wait_alu 0xf1ff
	v_add_co_ci_u32_e64 v125, s0, s5, v125, s0
	v_add_co_u32 v126, s0, s4, v126
	s_wait_alu 0xf1ff
	;; [unrolled: 3-line block ×5, first 2 shown]
	v_add_co_ci_u32_e64 v133, s0, s5, v133, s0
	v_fmac_f32_e32 v69, v88, v87
	v_dual_add_f32 v64, v82, v79 :: v_dual_fmamk_f32 v87, v80, 0xbf5db3d7, v76
	v_dual_fmamk_f32 v86, v75, 0x3f5db3d7, v73 :: v_dual_add_f32 v13, v13, v15
	s_wait_loadcnt 0xe
	v_dual_fmac_f32 v76, 0x3f5db3d7, v80 :: v_dual_mul_f32 v83, v91, v93
	v_mul_f32_e32 v84, v90, v93
	s_wait_loadcnt 0xc
	v_mul_f32_e32 v89, v95, v97
	v_mul_f32_e32 v93, v94, v97
	s_wait_loadcnt 0xa
	v_mul_f32_e32 v97, v99, v101
	;; [unrolled: 3-line block ×4, first 2 shown]
	v_fmac_f32_e32 v84, v91, v92
	s_wait_loadcnt 0x5
	v_mul_f32_e32 v82, v111, v67
	v_fma_f32 v78, v102, v104, -v134
	v_fmac_f32_e32 v105, v103, v104
	v_fmac_f32_e32 v101, v99, v100
	v_add_f32_e32 v15, v68, v70
	v_fma_f32 v68, v90, v92, -v83
	v_fma_f32 v79, v106, v108, -v135
	s_wait_loadcnt 0x1
	v_mul_f32_e32 v90, v105, v119
	v_mul_f32_e32 v88, v101, v117
	;; [unrolled: 1-line block ×3, first 2 shown]
	v_fmamk_f32 v83, v71, 0x3f5db3d7, v72
	v_fmac_f32_e32 v72, 0xbf5db3d7, v71
	v_fma_f32 v70, v94, v96, -v89
	v_add_f32_e32 v65, v77, v85
	s_wait_loadcnt 0x0
	v_dual_fmamk_f32 v85, v74, 0xbf5db3d7, v66 :: v_dual_mul_f32 v94, v79, v121
	v_fmac_f32_e32 v66, 0x3f5db3d7, v74
	v_dual_sub_f32 v74, v13, v15 :: v_dual_fmac_f32 v109, v107, v108
	v_dual_fmac_f32 v82, v110, v69 :: v_dual_add_f32 v13, v13, v15
	v_dual_mul_f32 v80, v70, v115 :: v_dual_fmac_f32 v93, v95, v96
	s_delay_alu instid0(VALU_DEP_3) | instskip(SKIP_3) | instid1(VALU_DEP_3)
	v_fmac_f32_e32 v94, v120, v109
	v_mul_f32_e32 v95, -0.5, v85
	v_fma_f32 v77, v98, v100, -v97
	v_dual_mul_f32 v81, v111, v69 :: v_dual_mul_f32 v96, 0xbf5db3d7, v66
	v_dual_mul_f32 v92, v109, v121 :: v_dual_fmac_f32 v95, 0x3f5db3d7, v86
	v_sub_f32_e32 v71, v64, v65
	v_dual_add_f32 v64, v64, v65 :: v_dual_fmac_f32 v73, 0xbf5db3d7, v75
	v_fmac_f32_e32 v80, v114, v93
	v_mul_f32_e32 v75, v68, v113
	v_mul_f32_e32 v65, v93, v115
	v_fma_f32 v81, v110, v67, -v81
	v_fmac_f32_e32 v96, 0.5, v73
	v_mul_f32_e32 v97, 0x3f5db3d7, v73
	v_fmac_f32_e32 v75, v112, v84
	v_mul_f32_e32 v15, v84, v113
	v_mul_f32_e32 v89, v77, v117
	v_mul_f32_e32 v69, -0.5, v86
	v_fmac_f32_e32 v97, 0.5, v66
	v_mul_f32_e32 v91, v78, v119
	v_fma_f32 v15, v112, v68, -v15
	v_fma_f32 v68, v114, v70, -v65
	v_fma_f32 v70, v116, v77, -v88
	v_fma_f32 v77, v118, v78, -v90
	v_fma_f32 v78, v120, v79, -v92
	v_mul_f32_e32 v65, v13, v82
	v_mul_f32_e32 v79, v64, v82
	v_fmac_f32_e32 v69, 0xbf5db3d7, v85
	v_sub_f32_e32 v82, v76, v97
	v_add_f32_e32 v76, v76, v97
	v_fmac_f32_e32 v65, v64, v81
	v_fma_f32 v64, v13, v81, -v79
	v_sub_f32_e32 v81, v72, v96
	v_add_f32_e32 v72, v72, v96
	v_fmac_f32_e32 v89, v116, v101
	v_fmac_f32_e32 v91, v118, v105
	v_sub_f32_e32 v13, v83, v69
	v_add_f32_e32 v83, v83, v69
	v_mul_f32_e32 v73, v76, v94
	v_mul_f32_e32 v67, v74, v89
	;; [unrolled: 1-line block ×3, first 2 shown]
	v_sub_f32_e32 v79, v87, v95
	v_add_f32_e32 v84, v87, v95
	global_store_b64 v[122:123], v[64:65], off
	v_fmac_f32_e32 v67, v71, v70
	v_fma_f32 v66, v74, v70, -v66
	v_dual_mul_f32 v70, v72, v94 :: v_dual_mul_f32 v65, v79, v75
	v_mul_f32_e32 v64, v13, v75
	v_mul_f32_e32 v71, v84, v91
	;; [unrolled: 1-line block ×4, first 2 shown]
	v_dual_mul_f32 v74, v81, v80 :: v_dual_fmac_f32 v73, v72, v78
	v_fma_f32 v72, v76, v78, -v70
	v_fmac_f32_e32 v71, v83, v77
	v_fma_f32 v70, v84, v77, -v75
	v_fmac_f32_e32 v69, v81, v68
	v_fma_f32 v68, v82, v68, -v74
	v_fmac_f32_e32 v65, v13, v15
	v_fma_f32 v64, v79, v15, -v64
	s_clause 0x4
	global_store_b64 v[124:125], v[72:73], off
	global_store_b64 v[126:127], v[70:71], off
	;; [unrolled: 1-line block ×5, first 2 shown]
.LBB0_32:
	s_wait_alu 0xfffe
	s_or_b32 exec_lo, exec_lo, s2
	v_cmp_gt_u32_e64 s1, 0x7e, v0
	v_cmp_lt_u32_e64 s0, 0x7d, v0
	v_cndmask_b32_e64 v13, 0, 1, vcc_lo
	s_wait_alu 0xf1ff
	s_delay_alu instid0(VALU_DEP_3) | instskip(NEXT) | instid1(VALU_DEP_3)
	v_cndmask_b32_e64 v0, 0, 1, s1
	s_or_b32 vcc_lo, s0, s9
	s_mov_b32 s0, exec_lo
	s_wait_alu 0xfffe
	s_delay_alu instid0(VALU_DEP_1) | instskip(NEXT) | instid1(VALU_DEP_1)
	v_cndmask_b32_e32 v0, v13, v0, vcc_lo
	v_and_b32_e32 v0, 1, v0
	s_delay_alu instid0(VALU_DEP_1)
	v_cmpx_eq_u32_e32 1, v0
	s_cbranch_execz .LBB0_34
; %bb.33:
	s_wait_loadcnt_dscnt 0x1204
	v_dual_mul_f32 v0, v27, v6 :: v_dual_mul_f32 v13, v29, v8
	s_wait_dscnt 0x2
	v_dual_mul_f32 v6, v26, v6 :: v_dual_mul_f32 v15, v51, v4
	v_and_b32_e32 v12, 0xffff, v12
	s_delay_alu instid0(VALU_DEP_3) | instskip(SKIP_1) | instid1(VALU_DEP_4)
	v_fma_f32 v0, v26, v5, -v0
	v_fma_f32 v13, v28, v7, -v13
	v_dual_fmac_f32 v6, v27, v5 :: v_dual_mul_f32 v5, v28, v8
	v_mul_f32_e32 v8, v17, v2
	v_fma_f32 v15, v50, v3, -v15
	v_mul_f32_e32 v4, v50, v4
	s_wait_dscnt 0x1
	v_add_f32_e32 v26, v9, v13
	v_fmac_f32_e32 v5, v29, v7
	s_delay_alu instid0(VALU_DEP_3)
	v_fmac_f32_e32 v4, v51, v3
	s_wait_dscnt 0x0
	v_mul_f32_e32 v3, v43, v63
	v_fma_f32 v7, v16, v1, -v8
	v_add_f32_e32 v8, v13, v15
	v_mul_f32_e32 v2, v16, v2
	s_delay_alu instid0(VALU_DEP_2) | instskip(NEXT) | instid1(VALU_DEP_2)
	v_dual_add_f32 v28, v0, v7 :: v_dual_fmac_f32 v9, -0.5, v8
	v_fmac_f32_e32 v2, v17, v1
	v_fma_f32 v1, v42, v62, -v3
	s_delay_alu instid0(VALU_DEP_2) | instskip(SKIP_1) | instid1(VALU_DEP_3)
	v_dual_add_f32 v29, v6, v2 :: v_dual_sub_f32 v8, v5, v4
	v_add_f32_e32 v3, v26, v15
	v_dual_mul_f32 v16, v42, v63 :: v_dual_add_f32 v27, v7, v1
	v_sub_f32_e32 v7, v7, v1
	s_delay_alu instid0(VALU_DEP_4) | instskip(NEXT) | instid1(VALU_DEP_3)
	v_fmamk_f32 v17, v8, 0x3f5db3d7, v9
	v_dual_fmac_f32 v9, 0xbf5db3d7, v8 :: v_dual_fmac_f32 v16, v43, v62
	v_dual_add_f32 v8, v10, v5 :: v_dual_add_f32 v5, v5, v4
	s_delay_alu instid0(VALU_DEP_2) | instskip(NEXT) | instid1(VALU_DEP_2)
	v_add_f32_e32 v26, v2, v16
	v_dual_fmac_f32 v10, -0.5, v5 :: v_dual_sub_f32 v5, v13, v15
	s_delay_alu instid0(VALU_DEP_3) | instskip(NEXT) | instid1(VALU_DEP_3)
	v_add_f32_e32 v4, v8, v4
	v_fmac_f32_e32 v6, -0.5, v26
	s_delay_alu instid0(VALU_DEP_1) | instskip(SKIP_3) | instid1(VALU_DEP_3)
	v_fmamk_f32 v13, v7, 0xbf5db3d7, v6
	v_dual_fmac_f32 v0, -0.5, v27 :: v_dual_add_f32 v1, v28, v1
	s_wait_loadcnt 0x10
	v_mul_f32_e32 v27, v59, v61
	v_dual_mul_f32 v15, 0x3f5db3d7, v13 :: v_dual_fmac_f32 v6, 0x3f5db3d7, v7
	v_sub_f32_e32 v2, v2, v16
	s_delay_alu instid0(VALU_DEP_3) | instskip(NEXT) | instid1(VALU_DEP_2)
	v_fma_f32 v27, v58, v60, -v27
	v_dual_sub_f32 v51, v3, v1 :: v_dual_fmamk_f32 v8, v2, 0x3f5db3d7, v0
	s_wait_loadcnt 0xf
	s_delay_alu instid0(VALU_DEP_2) | instskip(NEXT) | instid1(VALU_DEP_2)
	v_dual_fmac_f32 v0, 0xbf5db3d7, v2 :: v_dual_mul_f32 v43, v27, v57
	v_dual_fmac_f32 v15, 0.5, v8 :: v_dual_fmamk_f32 v2, v5, 0xbf5db3d7, v10
	v_dual_fmac_f32 v10, 0x3f5db3d7, v5 :: v_dual_add_f32 v5, v29, v16
	v_mul_f32_e32 v8, 0xbf5db3d7, v8
	s_delay_alu instid0(VALU_DEP_3) | instskip(SKIP_1) | instid1(VALU_DEP_4)
	v_add_f32_e32 v26, v17, v15
	v_sub_f32_e32 v15, v17, v15
	v_add_f32_e32 v29, v4, v5
	s_delay_alu instid0(VALU_DEP_4) | instskip(SKIP_2) | instid1(VALU_DEP_2)
	v_fmac_f32_e32 v8, 0.5, v13
	v_mul_f32_e32 v13, v58, v61
	v_mul_f32_e32 v7, -0.5, v0
	v_fmac_f32_e32 v13, v59, v60
	s_delay_alu instid0(VALU_DEP_2) | instskip(SKIP_3) | instid1(VALU_DEP_3)
	v_fmac_f32_e32 v7, 0x3f5db3d7, v6
	v_mul_f32_e32 v6, -0.5, v6
	s_wait_loadcnt 0xd
	v_dual_add_f32 v16, v3, v1 :: v_dual_mul_f32 v1, v53, v55
	v_dual_fmac_f32 v43, v56, v13 :: v_dual_add_f32 v28, v9, v7
	s_delay_alu instid0(VALU_DEP_3)
	v_fmac_f32_e32 v6, 0xbf5db3d7, v0
	v_dual_mul_f32 v0, v13, v57 :: v_dual_sub_f32 v17, v2, v8
	v_sub_f32_e32 v57, v9, v7
	v_sub_f32_e32 v9, v4, v5
	s_wait_loadcnt 0xa
	v_mul_f32_e32 v5, v47, v49
	v_fma_f32 v3, v56, v27, -v0
	v_dual_mul_f32 v0, v29, v43 :: v_dual_mul_f32 v7, v46, v49
	v_add_f32_e32 v42, v2, v8
	s_delay_alu instid0(VALU_DEP_4)
	v_fma_f32 v5, v46, v48, -v5
	v_mul_f32_e32 v2, v52, v55
	v_fma_f32 v4, v52, v54, -v1
	v_fmac_f32_e32 v7, v47, v48
	v_dual_mul_f32 v1, v16, v43 :: v_dual_add_f32 v50, v10, v6
	s_wait_loadcnt 0x9
	v_dual_sub_f32 v10, v10, v6 :: v_dual_mul_f32 v13, v5, v45
	v_fma_f32 v0, v16, v3, -v0
	v_fmac_f32_e32 v2, v53, v54
	v_dual_mul_f32 v16, v7, v45 :: v_dual_fmac_f32 v1, v29, v3
	s_delay_alu instid0(VALU_DEP_4)
	v_fmac_f32_e32 v13, v44, v7
	s_wait_loadcnt 0x7
	v_mul_f32_e32 v7, v38, v41
	v_mul_f32_e32 v6, v4, v37
	s_wait_loadcnt 0x4
	v_dual_mul_f32 v8, v2, v37 :: v_dual_mul_f32 v27, v33, v35
	s_delay_alu instid0(VALU_DEP_2) | instskip(NEXT) | instid1(VALU_DEP_2)
	v_dual_fmac_f32 v7, v39, v40 :: v_dual_fmac_f32 v6, v36, v2
	v_fma_f32 v4, v36, v4, -v8
	v_mul_f32_e32 v8, v39, v41
	s_delay_alu instid0(VALU_DEP_4) | instskip(NEXT) | instid1(VALU_DEP_4)
	v_fma_f32 v27, v32, v34, -v27
	v_mul_f32_e32 v3, v26, v6
	v_mul_f32_e32 v2, v42, v6
	s_delay_alu instid0(VALU_DEP_4) | instskip(NEXT) | instid1(VALU_DEP_3)
	v_fma_f32 v6, v38, v40, -v8
	v_fmac_f32_e32 v3, v42, v4
	v_fma_f32 v8, v44, v5, -v16
	v_mul_f32_e32 v5, v50, v13
	v_fma_f32 v2, v26, v4, -v2
	s_delay_alu instid0(VALU_DEP_2) | instskip(SKIP_3) | instid1(VALU_DEP_2)
	v_fma_f32 v4, v28, v8, -v5
	v_dual_mul_f32 v5, v28, v13 :: v_dual_mul_f32 v26, v7, v31
	v_mul_f32_e32 v13, v32, v35
	s_wait_loadcnt 0x3
	v_dual_fmac_f32 v5, v50, v8 :: v_dual_mul_f32 v8, v27, v25
	s_delay_alu instid0(VALU_DEP_2) | instskip(SKIP_1) | instid1(VALU_DEP_2)
	v_dual_mul_f32 v16, v6, v31 :: v_dual_fmac_f32 v13, v33, v34
	v_fma_f32 v26, v30, v6, -v26
	v_fmac_f32_e32 v16, v30, v7
	s_delay_alu instid0(VALU_DEP_1) | instskip(NEXT) | instid1(VALU_DEP_1)
	v_mul_f32_e32 v7, v51, v16
	v_fmac_f32_e32 v7, v9, v26
	v_mul_f32_e32 v6, v9, v16
	s_wait_loadcnt 0x1
	v_mul_f32_e32 v16, v21, v23
	v_mul_f32_e32 v9, v13, v25
	;; [unrolled: 1-line block ×3, first 2 shown]
	v_mad_u32_u24 v25, 0x5a, v12, v14
	v_fmac_f32_e32 v8, v24, v13
	v_fma_f32 v16, v20, v22, -v16
	v_fma_f32 v24, v24, v27, -v9
	v_fmac_f32_e32 v23, v21, v22
	v_mad_co_u64_u32 v[12:13], null, s8, v25, v[11:12]
	v_mov_b32_e32 v13, 0
	s_wait_loadcnt 0x0
	v_mul_f32_e32 v21, v16, v19
	v_mul_f32_e32 v14, v23, v19
	;; [unrolled: 1-line block ×3, first 2 shown]
	v_fma_f32 v6, v51, v26, -v6
	s_delay_alu instid0(VALU_DEP_4) | instskip(SKIP_1) | instid1(VALU_DEP_4)
	v_fmac_f32_e32 v21, v18, v23
	v_mul_f32_e32 v9, v15, v8
	v_fma_f32 v8, v15, v24, -v20
	v_fma_f32 v22, v18, v16, -v14
	v_lshlrev_b64_e32 v[14:15], 3, v[12:13]
	v_mul_f32_e32 v12, v10, v21
	v_mul_f32_e32 v16, v57, v21
	v_fmac_f32_e32 v9, v17, v24
	v_add_nc_u32_e32 v17, 18, v25
	v_add_co_u32 v19, vcc_lo, s4, v14
	s_wait_alu 0xfffd
	v_add_co_ci_u32_e32 v20, vcc_lo, s5, v15, vcc_lo
	s_delay_alu instid0(VALU_DEP_3)
	v_mad_co_u64_u32 v[17:18], null, s8, v17, v[11:12]
	v_mov_b32_e32 v18, v13
	v_fma_f32 v15, v57, v22, -v12
	v_fmac_f32_e32 v16, v10, v22
	v_add_nc_u32_e32 v10, 36, v25
	v_add_nc_u32_e32 v12, 54, v25
	global_store_b64 v[19:20], v[0:1], off
	v_lshlrev_b64_e32 v[0:1], 3, v[17:18]
	v_mad_co_u64_u32 v[17:18], null, s8, v10, v[11:12]
	v_mad_co_u64_u32 v[19:20], null, s8, v12, v[11:12]
	v_add_nc_u32_e32 v10, 0x48, v25
	v_add_nc_u32_e32 v12, 0x5a, v25
	v_mov_b32_e32 v18, v13
	v_mov_b32_e32 v20, v13
	v_add_co_u32 v0, vcc_lo, s4, v0
	s_delay_alu instid0(VALU_DEP_4) | instskip(NEXT) | instid1(VALU_DEP_4)
	v_mad_co_u64_u32 v[21:22], null, s8, v10, v[11:12]
	v_lshlrev_b64_e32 v[17:18], 3, v[17:18]
	v_mov_b32_e32 v22, v13
	v_mad_co_u64_u32 v[10:11], null, s8, v12, v[11:12]
	v_mov_b32_e32 v11, v13
	v_lshlrev_b64_e32 v[19:20], 3, v[19:20]
	s_wait_alu 0xfffd
	v_add_co_ci_u32_e32 v1, vcc_lo, s5, v1, vcc_lo
	v_add_co_u32 v17, vcc_lo, s4, v17
	v_lshlrev_b64_e32 v[21:22], 3, v[21:22]
	s_wait_alu 0xfffd
	v_add_co_ci_u32_e32 v18, vcc_lo, s5, v18, vcc_lo
	v_add_co_u32 v12, vcc_lo, s4, v19
	;; [unrolled: 4-line block ×3, first 2 shown]
	s_wait_alu 0xfffd
	v_add_co_ci_u32_e32 v20, vcc_lo, s5, v22, vcc_lo
	v_add_co_u32 v10, vcc_lo, s4, v10
	s_wait_alu 0xfffd
	v_add_co_ci_u32_e32 v11, vcc_lo, s5, v11, vcc_lo
	s_clause 0x4
	global_store_b64 v[0:1], v[2:3], off
	global_store_b64 v[17:18], v[4:5], off
	;; [unrolled: 1-line block ×5, first 2 shown]
.LBB0_34:
	s_nop 0
	s_sendmsg sendmsg(MSG_DEALLOC_VGPRS)
	s_endpgm
	.section	.rodata,"a",@progbits
	.p2align	6, 0x0
	.amdhsa_kernel fft_rtc_fwd_len108_factors_9_2_6_wgs_252_tpt_12_dim3_sp_ip_CI_sbcc_twdbase8_3step_dirReg_intrinsicReadWrite
		.amdhsa_group_segment_fixed_size 0
		.amdhsa_private_segment_fixed_size 0
		.amdhsa_kernarg_size 88
		.amdhsa_user_sgpr_count 2
		.amdhsa_user_sgpr_dispatch_ptr 0
		.amdhsa_user_sgpr_queue_ptr 0
		.amdhsa_user_sgpr_kernarg_segment_ptr 1
		.amdhsa_user_sgpr_dispatch_id 0
		.amdhsa_user_sgpr_private_segment_size 0
		.amdhsa_wavefront_size32 1
		.amdhsa_uses_dynamic_stack 0
		.amdhsa_enable_private_segment 0
		.amdhsa_system_sgpr_workgroup_id_x 1
		.amdhsa_system_sgpr_workgroup_id_y 0
		.amdhsa_system_sgpr_workgroup_id_z 0
		.amdhsa_system_sgpr_workgroup_info 0
		.amdhsa_system_vgpr_workitem_id 0
		.amdhsa_next_free_vgpr 137
		.amdhsa_next_free_sgpr 26
		.amdhsa_reserve_vcc 1
		.amdhsa_float_round_mode_32 0
		.amdhsa_float_round_mode_16_64 0
		.amdhsa_float_denorm_mode_32 3
		.amdhsa_float_denorm_mode_16_64 3
		.amdhsa_fp16_overflow 0
		.amdhsa_workgroup_processor_mode 1
		.amdhsa_memory_ordered 1
		.amdhsa_forward_progress 0
		.amdhsa_round_robin_scheduling 0
		.amdhsa_exception_fp_ieee_invalid_op 0
		.amdhsa_exception_fp_denorm_src 0
		.amdhsa_exception_fp_ieee_div_zero 0
		.amdhsa_exception_fp_ieee_overflow 0
		.amdhsa_exception_fp_ieee_underflow 0
		.amdhsa_exception_fp_ieee_inexact 0
		.amdhsa_exception_int_div_zero 0
	.end_amdhsa_kernel
	.text
.Lfunc_end0:
	.size	fft_rtc_fwd_len108_factors_9_2_6_wgs_252_tpt_12_dim3_sp_ip_CI_sbcc_twdbase8_3step_dirReg_intrinsicReadWrite, .Lfunc_end0-fft_rtc_fwd_len108_factors_9_2_6_wgs_252_tpt_12_dim3_sp_ip_CI_sbcc_twdbase8_3step_dirReg_intrinsicReadWrite
                                        ; -- End function
	.section	.AMDGPU.csdata,"",@progbits
; Kernel info:
; codeLenInByte = 7324
; NumSgprs: 28
; NumVgprs: 137
; ScratchSize: 0
; MemoryBound: 0
; FloatMode: 240
; IeeeMode: 1
; LDSByteSize: 0 bytes/workgroup (compile time only)
; SGPRBlocks: 3
; VGPRBlocks: 17
; NumSGPRsForWavesPerEU: 28
; NumVGPRsForWavesPerEU: 137
; Occupancy: 10
; WaveLimiterHint : 1
; COMPUTE_PGM_RSRC2:SCRATCH_EN: 0
; COMPUTE_PGM_RSRC2:USER_SGPR: 2
; COMPUTE_PGM_RSRC2:TRAP_HANDLER: 0
; COMPUTE_PGM_RSRC2:TGID_X_EN: 1
; COMPUTE_PGM_RSRC2:TGID_Y_EN: 0
; COMPUTE_PGM_RSRC2:TGID_Z_EN: 0
; COMPUTE_PGM_RSRC2:TIDIG_COMP_CNT: 0
	.text
	.p2alignl 7, 3214868480
	.fill 96, 4, 3214868480
	.type	__hip_cuid_99f44dca05053f1a,@object ; @__hip_cuid_99f44dca05053f1a
	.section	.bss,"aw",@nobits
	.globl	__hip_cuid_99f44dca05053f1a
__hip_cuid_99f44dca05053f1a:
	.byte	0                               ; 0x0
	.size	__hip_cuid_99f44dca05053f1a, 1

	.ident	"AMD clang version 19.0.0git (https://github.com/RadeonOpenCompute/llvm-project roc-6.4.0 25133 c7fe45cf4b819c5991fe208aaa96edf142730f1d)"
	.section	".note.GNU-stack","",@progbits
	.addrsig
	.addrsig_sym __hip_cuid_99f44dca05053f1a
	.amdgpu_metadata
---
amdhsa.kernels:
  - .args:
      - .actual_access:  read_only
        .address_space:  global
        .offset:         0
        .size:           8
        .value_kind:     global_buffer
      - .address_space:  global
        .offset:         8
        .size:           8
        .value_kind:     global_buffer
      - .actual_access:  read_only
        .address_space:  global
        .offset:         16
        .size:           8
        .value_kind:     global_buffer
      - .actual_access:  read_only
        .address_space:  global
        .offset:         24
        .size:           8
        .value_kind:     global_buffer
      - .offset:         32
        .size:           8
        .value_kind:     by_value
      - .actual_access:  read_only
        .address_space:  global
        .offset:         40
        .size:           8
        .value_kind:     global_buffer
      - .actual_access:  read_only
        .address_space:  global
        .offset:         48
        .size:           8
        .value_kind:     global_buffer
      - .offset:         56
        .size:           4
        .value_kind:     by_value
      - .actual_access:  read_only
        .address_space:  global
        .offset:         64
        .size:           8
        .value_kind:     global_buffer
      - .actual_access:  read_only
        .address_space:  global
        .offset:         72
        .size:           8
        .value_kind:     global_buffer
      - .address_space:  global
        .offset:         80
        .size:           8
        .value_kind:     global_buffer
    .group_segment_fixed_size: 0
    .kernarg_segment_align: 8
    .kernarg_segment_size: 88
    .language:       OpenCL C
    .language_version:
      - 2
      - 0
    .max_flat_workgroup_size: 252
    .name:           fft_rtc_fwd_len108_factors_9_2_6_wgs_252_tpt_12_dim3_sp_ip_CI_sbcc_twdbase8_3step_dirReg_intrinsicReadWrite
    .private_segment_fixed_size: 0
    .sgpr_count:     28
    .sgpr_spill_count: 0
    .symbol:         fft_rtc_fwd_len108_factors_9_2_6_wgs_252_tpt_12_dim3_sp_ip_CI_sbcc_twdbase8_3step_dirReg_intrinsicReadWrite.kd
    .uniform_work_group_size: 1
    .uses_dynamic_stack: false
    .vgpr_count:     137
    .vgpr_spill_count: 0
    .wavefront_size: 32
    .workgroup_processor_mode: 1
amdhsa.target:   amdgcn-amd-amdhsa--gfx1201
amdhsa.version:
  - 1
  - 2
...

	.end_amdgpu_metadata
